;; amdgpu-corpus repo=ROCm/rocFFT kind=compiled arch=gfx906 opt=O3
	.text
	.amdgcn_target "amdgcn-amd-amdhsa--gfx906"
	.amdhsa_code_object_version 6
	.protected	fft_rtc_back_len160_factors_4_10_4_wgs_192_tpt_16_dp_op_CI_CI_sbcc_twdbase6_3step_dirReg_intrinsicReadWrite ; -- Begin function fft_rtc_back_len160_factors_4_10_4_wgs_192_tpt_16_dp_op_CI_CI_sbcc_twdbase6_3step_dirReg_intrinsicReadWrite
	.globl	fft_rtc_back_len160_factors_4_10_4_wgs_192_tpt_16_dp_op_CI_CI_sbcc_twdbase6_3step_dirReg_intrinsicReadWrite
	.p2align	8
	.type	fft_rtc_back_len160_factors_4_10_4_wgs_192_tpt_16_dp_op_CI_CI_sbcc_twdbase6_3step_dirReg_intrinsicReadWrite,@function
fft_rtc_back_len160_factors_4_10_4_wgs_192_tpt_16_dp_op_CI_CI_sbcc_twdbase6_3step_dirReg_intrinsicReadWrite: ; @fft_rtc_back_len160_factors_4_10_4_wgs_192_tpt_16_dp_op_CI_CI_sbcc_twdbase6_3step_dirReg_intrinsicReadWrite
; %bb.0:
	s_load_dwordx8 s[8:15], s[4:5], 0x8
	s_load_dwordx2 s[34:35], s[4:5], 0x28
	s_movk_i32 s0, 0xc0
	v_cmp_gt_u32_e32 vcc, s0, v0
	s_and_saveexec_b64 s[0:1], vcc
	s_cbranch_execz .LBB0_2
; %bb.1:
	v_lshlrev_b32_e32 v5, 4, v0
	s_waitcnt lgkmcnt(0)
	global_load_dwordx4 v[1:4], v5, s[8:9]
	v_add_u32_e32 v5, 0, v5
	v_add_u32_e32 v5, 0x7800, v5
	s_waitcnt vmcnt(0)
	ds_write2_b64 v5, v[1:2], v[3:4] offset1:1
.LBB0_2:
	s_or_b64 exec, exec, s[0:1]
	s_waitcnt lgkmcnt(0)
	s_load_dwordx2 s[2:3], s[12:13], 0x8
	s_mov_b32 s7, 0
	s_mov_b64 s[30:31], 0
	s_waitcnt lgkmcnt(0)
	s_add_u32 s0, s2, -1
	s_addc_u32 s1, s3, -1
	s_add_u32 s8, 0, 0x55540000
	s_addc_u32 s9, 0, 0x55
	s_mul_hi_u32 s17, s8, -12
	s_add_i32 s9, s9, 0x15555500
	s_sub_i32 s17, s17, s8
	s_mul_i32 s20, s9, -12
	s_mul_i32 s16, s8, -12
	s_add_i32 s17, s17, s20
	s_mul_hi_u32 s18, s9, s16
	s_mul_i32 s19, s9, s16
	s_mul_i32 s21, s8, s17
	s_mul_hi_u32 s16, s8, s16
	s_mul_hi_u32 s20, s8, s17
	s_add_u32 s16, s16, s21
	s_addc_u32 s20, 0, s20
	s_add_u32 s16, s16, s19
	s_mul_hi_u32 s21, s9, s17
	s_addc_u32 s16, s20, s18
	s_addc_u32 s18, s21, 0
	s_mul_i32 s17, s9, s17
	s_add_u32 s16, s16, s17
	v_mov_b32_e32 v1, s16
	s_addc_u32 s17, 0, s18
	v_add_co_u32_e32 v1, vcc, s8, v1
	s_cmp_lg_u64 vcc, 0
	s_addc_u32 s8, s9, s17
	v_readfirstlane_b32 s17, v1
	s_mul_i32 s16, s0, s8
	s_mul_hi_u32 s18, s0, s17
	s_mul_hi_u32 s9, s0, s8
	s_add_u32 s16, s18, s16
	s_addc_u32 s9, 0, s9
	s_mul_hi_u32 s19, s1, s17
	s_mul_i32 s17, s1, s17
	s_add_u32 s16, s16, s17
	s_mul_hi_u32 s18, s1, s8
	s_addc_u32 s9, s9, s19
	s_addc_u32 s16, s18, 0
	s_mul_i32 s8, s1, s8
	s_add_u32 s8, s9, s8
	s_addc_u32 s9, 0, s16
	s_add_u32 s16, s8, 1
	s_addc_u32 s17, s9, 0
	s_add_u32 s18, s8, 2
	s_mul_i32 s20, s9, 12
	s_mul_hi_u32 s21, s8, 12
	s_addc_u32 s19, s9, 0
	s_add_i32 s21, s21, s20
	s_mul_i32 s20, s8, 12
	v_mov_b32_e32 v1, s20
	v_sub_co_u32_e32 v1, vcc, s0, v1
	s_cmp_lg_u64 vcc, 0
	s_subb_u32 s0, s1, s21
	v_subrev_co_u32_e32 v2, vcc, 12, v1
	s_cmp_lg_u64 vcc, 0
	s_subb_u32 s1, s0, 0
	v_readfirstlane_b32 s20, v2
	s_cmp_gt_u32 s20, 11
	s_cselect_b32 s20, -1, 0
	s_cmp_eq_u32 s1, 0
	s_cselect_b32 s1, s20, -1
	s_cmp_lg_u32 s1, 0
	s_cselect_b32 s1, s18, s16
	s_cselect_b32 s16, s19, s17
	v_readfirstlane_b32 s17, v1
	s_cmp_gt_u32 s17, 11
	s_cselect_b32 s17, -1, 0
	s_cmp_eq_u32 s0, 0
	s_cselect_b32 s0, s17, -1
	s_cmp_lg_u32 s0, 0
	s_cselect_b32 s1, s1, s8
	s_cselect_b32 s0, s16, s9
	s_add_u32 s8, s1, 1
	s_addc_u32 s9, s0, 0
	v_mov_b32_e32 v1, s8
	v_mov_b32_e32 v2, s9
	v_cmp_lt_u64_e32 vcc, s[6:7], v[1:2]
	s_cbranch_vccnz .LBB0_4
; %bb.3:
	v_cvt_f32_u32_e32 v1, s8
	s_sub_i32 s0, 0, s8
	s_mov_b32 s31, s7
	v_rcp_iflag_f32_e32 v1, v1
	v_mul_f32_e32 v1, 0x4f7ffffe, v1
	v_cvt_u32_f32_e32 v1, v1
	v_readfirstlane_b32 s1, v1
	s_mul_i32 s0, s0, s1
	s_mul_hi_u32 s0, s1, s0
	s_add_i32 s1, s1, s0
	s_mul_hi_u32 s0, s6, s1
	s_mul_i32 s16, s0, s8
	s_sub_i32 s16, s6, s16
	s_add_i32 s1, s0, 1
	s_sub_i32 s17, s16, s8
	s_cmp_ge_u32 s16, s8
	s_cselect_b32 s0, s1, s0
	s_cselect_b32 s16, s17, s16
	s_add_i32 s1, s0, 1
	s_cmp_ge_u32 s16, s8
	s_cselect_b32 s30, s1, s0
.LBB0_4:
	s_mul_i32 s0, s30, s9
	s_mul_hi_u32 s1, s30, s8
	s_add_i32 s1, s1, s0
	s_mul_i32 s0, s30, s8
	s_load_dwordx4 s[20:23], s[4:5], 0x60
	s_load_dwordx2 s[28:29], s[4:5], 0x0
	s_load_dwordx4 s[24:27], s[14:15], 0x0
	s_load_dwordx4 s[16:19], s[34:35], 0x0
	s_sub_u32 s33, s6, s0
	s_subb_u32 s0, 0, s1
	s_mul_i32 s0, s0, 12
	s_waitcnt lgkmcnt(0)
	s_mul_hi_u32 s25, s33, 12
	s_add_i32 s25, s25, s0
	s_mul_i32 s33, s33, 12
	s_mul_i32 s0, s26, s25
	s_mul_hi_u32 s1, s26, s33
	s_add_i32 s0, s1, s0
	s_mul_i32 s1, s27, s33
	s_add_i32 s46, s0, s1
	s_mul_i32 s0, s18, s25
	s_mul_hi_u32 s1, s18, s33
	s_add_i32 s0, s1, s0
	s_mul_i32 s1, s19, s33
	s_add_i32 s19, s0, s1
	v_cmp_lt_u64_e64 s[0:1], s[10:11], 3
	s_mul_i32 s27, s26, s33
	s_mul_i32 s17, s18, s33
	s_and_b64 vcc, exec, s[0:1]
	s_cbranch_vccnz .LBB0_14
; %bb.5:
	s_add_u32 s4, s34, 16
	s_addc_u32 s5, s35, 0
	s_add_u32 s36, s14, 16
	s_addc_u32 s37, s15, 0
	s_add_u32 s12, s12, 16
	v_mov_b32_e32 v1, s10
	s_addc_u32 s13, s13, 0
	s_mov_b64 s[38:39], 2
	s_mov_b32 s40, 0
	v_mov_b32_e32 v2, s11
.LBB0_6:                                ; =>This Inner Loop Header: Depth=1
	s_load_dwordx2 s[42:43], s[12:13], 0x0
	s_waitcnt lgkmcnt(0)
	s_or_b64 s[0:1], s[30:31], s[42:43]
	s_mov_b32 s41, s1
	s_cmp_lg_u64 s[40:41], 0
	s_cbranch_scc0 .LBB0_11
; %bb.7:                                ;   in Loop: Header=BB0_6 Depth=1
	v_cvt_f32_u32_e32 v3, s42
	v_cvt_f32_u32_e32 v4, s43
	s_sub_u32 s0, 0, s42
	s_subb_u32 s1, 0, s43
	v_mac_f32_e32 v3, 0x4f800000, v4
	v_rcp_f32_e32 v3, v3
	v_mul_f32_e32 v3, 0x5f7ffffc, v3
	v_mul_f32_e32 v4, 0x2f800000, v3
	v_trunc_f32_e32 v4, v4
	v_mac_f32_e32 v3, 0xcf800000, v4
	v_cvt_u32_f32_e32 v4, v4
	v_cvt_u32_f32_e32 v3, v3
	v_readfirstlane_b32 s41, v4
	v_readfirstlane_b32 s44, v3
	s_mul_i32 s45, s0, s41
	s_mul_hi_u32 s48, s0, s44
	s_mul_i32 s47, s1, s44
	s_add_i32 s45, s48, s45
	s_mul_i32 s49, s0, s44
	s_add_i32 s45, s45, s47
	s_mul_hi_u32 s47, s44, s45
	s_mul_i32 s48, s44, s45
	s_mul_hi_u32 s44, s44, s49
	s_add_u32 s44, s44, s48
	s_addc_u32 s47, 0, s47
	s_mul_hi_u32 s50, s41, s49
	s_mul_i32 s49, s41, s49
	s_add_u32 s44, s44, s49
	s_mul_hi_u32 s48, s41, s45
	s_addc_u32 s44, s47, s50
	s_addc_u32 s47, s48, 0
	s_mul_i32 s45, s41, s45
	s_add_u32 s44, s44, s45
	s_addc_u32 s45, 0, s47
	v_add_co_u32_e32 v3, vcc, s44, v3
	s_cmp_lg_u64 vcc, 0
	s_addc_u32 s41, s41, s45
	v_readfirstlane_b32 s45, v3
	s_mul_i32 s44, s0, s41
	s_mul_hi_u32 s47, s0, s45
	s_add_i32 s44, s47, s44
	s_mul_i32 s1, s1, s45
	s_add_i32 s44, s44, s1
	s_mul_i32 s0, s0, s45
	s_mul_hi_u32 s47, s41, s0
	s_mul_i32 s48, s41, s0
	s_mul_i32 s50, s45, s44
	s_mul_hi_u32 s0, s45, s0
	s_mul_hi_u32 s49, s45, s44
	s_add_u32 s0, s0, s50
	s_addc_u32 s45, 0, s49
	s_add_u32 s0, s0, s48
	s_mul_hi_u32 s1, s41, s44
	s_addc_u32 s0, s45, s47
	s_addc_u32 s1, s1, 0
	s_mul_i32 s44, s41, s44
	s_add_u32 s0, s0, s44
	s_addc_u32 s1, 0, s1
	v_add_co_u32_e32 v3, vcc, s0, v3
	s_cmp_lg_u64 vcc, 0
	s_addc_u32 s0, s41, s1
	v_readfirstlane_b32 s44, v3
	s_mul_i32 s41, s30, s0
	s_mul_hi_u32 s45, s30, s44
	s_mul_hi_u32 s1, s30, s0
	s_add_u32 s41, s45, s41
	s_addc_u32 s1, 0, s1
	s_mul_hi_u32 s47, s31, s44
	s_mul_i32 s44, s31, s44
	s_add_u32 s41, s41, s44
	s_mul_hi_u32 s45, s31, s0
	s_addc_u32 s1, s1, s47
	s_addc_u32 s41, s45, 0
	s_mul_i32 s0, s31, s0
	s_add_u32 s44, s1, s0
	s_addc_u32 s41, 0, s41
	s_mul_i32 s0, s42, s41
	s_mul_hi_u32 s1, s42, s44
	s_add_i32 s0, s1, s0
	s_mul_i32 s1, s43, s44
	s_add_i32 s45, s0, s1
	s_mul_i32 s1, s42, s44
	v_mov_b32_e32 v3, s1
	s_sub_i32 s0, s31, s45
	v_sub_co_u32_e32 v3, vcc, s30, v3
	s_cmp_lg_u64 vcc, 0
	s_subb_u32 s47, s0, s43
	v_subrev_co_u32_e64 v4, s[0:1], s42, v3
	s_cmp_lg_u64 s[0:1], 0
	s_subb_u32 s0, s47, 0
	s_cmp_ge_u32 s0, s43
	v_readfirstlane_b32 s47, v4
	s_cselect_b32 s1, -1, 0
	s_cmp_ge_u32 s47, s42
	s_cselect_b32 s47, -1, 0
	s_cmp_eq_u32 s0, s43
	s_cselect_b32 s0, s47, s1
	s_add_u32 s1, s44, 1
	s_addc_u32 s47, s41, 0
	s_add_u32 s48, s44, 2
	s_addc_u32 s49, s41, 0
	s_cmp_lg_u32 s0, 0
	s_cselect_b32 s0, s48, s1
	s_cselect_b32 s1, s49, s47
	s_cmp_lg_u64 vcc, 0
	s_subb_u32 s45, s31, s45
	s_cmp_ge_u32 s45, s43
	v_readfirstlane_b32 s48, v3
	s_cselect_b32 s47, -1, 0
	s_cmp_ge_u32 s48, s42
	s_cselect_b32 s48, -1, 0
	s_cmp_eq_u32 s45, s43
	s_cselect_b32 s45, s48, s47
	s_cmp_lg_u32 s45, 0
	s_cselect_b32 s1, s1, s41
	s_cselect_b32 s0, s0, s44
	s_cbranch_execnz .LBB0_9
.LBB0_8:                                ;   in Loop: Header=BB0_6 Depth=1
	v_cvt_f32_u32_e32 v3, s42
	s_sub_i32 s0, 0, s42
	v_rcp_iflag_f32_e32 v3, v3
	v_mul_f32_e32 v3, 0x4f7ffffe, v3
	v_cvt_u32_f32_e32 v3, v3
	v_readfirstlane_b32 s1, v3
	s_mul_i32 s0, s0, s1
	s_mul_hi_u32 s0, s1, s0
	s_add_i32 s1, s1, s0
	s_mul_hi_u32 s0, s30, s1
	s_mul_i32 s41, s0, s42
	s_sub_i32 s41, s30, s41
	s_add_i32 s1, s0, 1
	s_sub_i32 s44, s41, s42
	s_cmp_ge_u32 s41, s42
	s_cselect_b32 s0, s1, s0
	s_cselect_b32 s41, s44, s41
	s_add_i32 s1, s0, 1
	s_cmp_ge_u32 s41, s42
	s_cselect_b32 s0, s1, s0
	s_mov_b32 s1, s40
.LBB0_9:                                ;   in Loop: Header=BB0_6 Depth=1
	s_mul_i32 s9, s42, s9
	s_mul_hi_u32 s41, s42, s8
	s_add_i32 s9, s41, s9
	s_mul_i32 s41, s43, s8
	s_add_i32 s9, s9, s41
	s_mul_i32 s41, s0, s43
	s_mul_hi_u32 s43, s0, s42
	s_load_dwordx2 s[44:45], s[36:37], 0x0
	s_add_i32 s41, s43, s41
	s_mul_i32 s43, s1, s42
	s_mul_i32 s8, s42, s8
	s_add_i32 s41, s41, s43
	s_mul_i32 s42, s0, s42
	s_sub_u32 s42, s30, s42
	s_subb_u32 s41, s31, s41
	s_waitcnt lgkmcnt(0)
	s_mul_i32 s30, s44, s41
	s_mul_hi_u32 s31, s44, s42
	s_add_i32 s43, s31, s30
	s_load_dwordx2 s[30:31], s[4:5], 0x0
	s_mul_i32 s45, s45, s42
	s_add_i32 s43, s43, s45
	s_mul_i32 s44, s44, s42
	s_add_u32 s27, s44, s27
	s_addc_u32 s46, s43, s46
	s_waitcnt lgkmcnt(0)
	s_mul_i32 s41, s30, s41
	s_mul_hi_u32 s43, s30, s42
	s_add_i32 s41, s43, s41
	s_mul_i32 s31, s31, s42
	s_add_i32 s41, s41, s31
	s_mul_i32 s30, s30, s42
	s_add_u32 s17, s30, s17
	s_addc_u32 s19, s41, s19
	s_add_u32 s38, s38, 1
	s_addc_u32 s39, s39, 0
	;; [unrolled: 2-line block ×4, first 2 shown]
	v_cmp_ge_u64_e32 vcc, s[38:39], v[1:2]
	s_add_u32 s12, s12, 8
	s_addc_u32 s13, s13, 0
	s_cbranch_vccnz .LBB0_12
; %bb.10:                               ;   in Loop: Header=BB0_6 Depth=1
	s_mov_b64 s[30:31], s[0:1]
	s_branch .LBB0_6
.LBB0_11:                               ;   in Loop: Header=BB0_6 Depth=1
                                        ; implicit-def: $sgpr0_sgpr1
	s_branch .LBB0_8
.LBB0_12:
	v_mov_b32_e32 v1, s8
	v_mov_b32_e32 v2, s9
	v_cmp_lt_u64_e32 vcc, s[6:7], v[1:2]
	s_mov_b64 s[30:31], 0
	s_cbranch_vccnz .LBB0_14
; %bb.13:
	v_cvt_f32_u32_e32 v1, s8
	s_sub_i32 s0, 0, s8
	v_rcp_iflag_f32_e32 v1, v1
	v_mul_f32_e32 v1, 0x4f7ffffe, v1
	v_cvt_u32_f32_e32 v1, v1
	v_readfirstlane_b32 s1, v1
	s_mul_i32 s0, s0, s1
	s_mul_hi_u32 s0, s1, s0
	s_add_i32 s1, s1, s0
	s_mul_hi_u32 s0, s6, s1
	s_mul_i32 s4, s0, s8
	s_sub_i32 s4, s6, s4
	s_add_i32 s1, s0, 1
	s_sub_i32 s5, s4, s8
	s_cmp_ge_u32 s4, s8
	s_cselect_b32 s0, s1, s0
	s_cselect_b32 s4, s5, s4
	s_add_i32 s1, s0, 1
	s_cmp_ge_u32 s4, s8
	s_cselect_b32 s30, s1, s0
.LBB0_14:
	s_lshl_b64 s[0:1], s[10:11], 3
	s_add_u32 s4, s14, s0
	s_addc_u32 s5, s15, s1
	s_load_dword s4, s[4:5], 0x0
	s_mov_b32 s6, 0x15555556
	v_mul_hi_u32 v57, v0, s6
	s_mov_b32 s11, 0x20000
	s_mov_b32 s10, -2
	s_waitcnt lgkmcnt(0)
	s_mul_i32 s4, s4, s30
	v_mul_u32_u24_e32 v1, 12, v57
	s_add_i32 s4, s4, s27
	v_sub_u32_e32 v58, v0, v1
	s_add_u32 s6, s34, s0
	s_addc_u32 s7, s35, s1
	v_mov_b32_e32 v1, s25
	v_add_co_u32_e32 v48, vcc, s33, v58
	v_addc_co_u32_e32 v49, vcc, 0, v1, vcc
	s_add_u32 s0, s33, 12
	v_mul_lo_u32 v37, s26, v58
	v_mul_lo_u32 v3, s24, v57
	v_mov_b32_e32 v1, s2
	s_addc_u32 s1, s25, 0
	v_mov_b32_e32 v2, s3
	v_cmp_le_u64_e64 s[0:1], s[0:1], v[1:2]
	v_cmp_gt_u64_e32 vcc, s[2:3], v[48:49]
	v_add_lshl_u32 v1, v37, v3, 4
	v_cndmask_b32_e64 v33, 0, 1, vcc
	s_or_b64 vcc, s[0:1], vcc
	v_add_u32_e32 v59, 40, v57
	v_cndmask_b32_e32 v9, -1, v1, vcc
	v_mul_lo_u32 v1, s24, v59
	v_add_u32_e32 v2, 0x78, v57
	v_mul_lo_u32 v2, s24, v2
	v_add_u32_e32 v3, 0x50, v57
	v_mul_lo_u32 v3, s24, v3
	v_add_lshl_u32 v1, v37, v1, 4
	v_cndmask_b32_e32 v10, -1, v1, vcc
	v_add_lshl_u32 v1, v37, v2, 4
	s_lshl_b32 s12, s4, 4
	s_mov_b32 s8, s20
	s_mov_b32 s9, s21
	v_cndmask_b32_e32 v17, -1, v1, vcc
	v_add_lshl_u32 v1, v37, v3, 4
	v_cndmask_b32_e32 v18, -1, v1, vcc
	buffer_load_dwordx4 v[1:4], v10, s[8:11], s12 offen
	buffer_load_dwordx4 v[5:8], v9, s[8:11], s12 offen
	v_add_u32_e32 v9, 56, v57
	v_add_u32_e32 v10, 0x88, v57
	v_mul_lo_u32 v19, s24, v9
	v_mul_lo_u32 v20, s24, v10
	buffer_load_dwordx4 v[9:12], v17, s[8:11], s12 offen
	buffer_load_dwordx4 v[13:16], v18, s[8:11], s12 offen
	v_add_u32_e32 v61, 16, v57
	v_add_lshl_u32 v17, v37, v19, 4
	v_or_b32_e32 v19, 0x60, v57
	v_add_lshl_u32 v18, v37, v20, 4
	v_mul_lo_u32 v20, s24, v61
	v_mul_lo_u32 v19, s24, v19
	v_cndmask_b32_e32 v34, -1, v17, vcc
	v_cndmask_b32_e32 v35, -1, v18, vcc
	v_add_lshl_u32 v17, v37, v20, 4
	v_add_lshl_u32 v18, v37, v19, 4
	v_cndmask_b32_e32 v36, -1, v17, vcc
	v_cndmask_b32_e32 v38, -1, v18, vcc
	buffer_load_dwordx4 v[17:20], v34, s[8:11], s12 offen
	buffer_load_dwordx4 v[21:24], v36, s[8:11], s12 offen
	;; [unrolled: 1-line block ×4, first 2 shown]
	s_movk_i32 s2, 0x60
	s_movk_i32 s3, 0x5f
	v_add_u32_e32 v34, 0x48, v57
	v_cmp_lt_u32_e64 s[4:5], s3, v0
	v_cmp_gt_u32_e64 s[2:3], s2, v0
	v_mul_lo_u32 v34, s24, v34
	v_cndmask_b32_e64 v0, 0, 1, s[2:3]
	s_or_b64 s[0:1], s[4:5], s[0:1]
	v_cndmask_b32_e64 v0, v33, v0, s[0:1]
	v_and_b32_e32 v0, 1, v0
	v_or_b32_e32 v60, 32, v57
	v_add_u32_e32 v36, 0x70, v57
	v_cmp_eq_u32_e64 s[0:1], 1, v0
	v_add_lshl_u32 v33, v37, v34, 4
	v_mul_lo_u32 v35, s24, v60
	v_mul_lo_u32 v36, s24, v36
	v_cndmask_b32_e64 v45, -1, v33, s[0:1]
	v_add_u32_e32 v33, 0x98, v57
	v_mul_lo_u32 v38, s24, v33
	v_add_lshl_u32 v35, v37, v35, 4
	v_add_lshl_u32 v33, v37, v36, 4
	v_cndmask_b32_e64 v0, -1, v35, s[0:1]
	v_cndmask_b32_e64 v33, -1, v33, s[0:1]
	v_add_lshl_u32 v37, v37, v38, 4
	buffer_load_dwordx4 v[33:36], v33, s[8:11], s12 offen
	v_cndmask_b32_e64 v46, -1, v37, s[0:1]
	buffer_load_dwordx4 v[37:40], v0, s[8:11], s12 offen
	buffer_load_dwordx4 v[41:44], v45, s[8:11], s12 offen
	;; [unrolled: 1-line block ×3, first 2 shown]
	v_lshlrev_b32_e32 v47, 4, v58
	s_waitcnt vmcnt(9)
	v_add_f64 v[9:10], v[1:2], -v[9:10]
	v_add_f64 v[11:12], v[3:4], -v[11:12]
	s_waitcnt vmcnt(8)
	v_add_f64 v[13:14], v[5:6], -v[13:14]
	v_add_f64 v[45:46], v[7:8], -v[15:16]
	v_fma_f64 v[53:54], v[1:2], 2.0, -v[9:10]
	v_fma_f64 v[55:56], v[3:4], 2.0, -v[11:12]
	v_add_f64 v[0:1], v[13:14], v[11:12]
	v_add_f64 v[2:3], v[45:46], -v[9:10]
	v_fma_f64 v[9:10], v[5:6], 2.0, -v[13:14]
	v_fma_f64 v[11:12], v[7:8], 2.0, -v[45:46]
	v_mul_u32_u24_e32 v4, 48, v57
	s_waitcnt vmcnt(5)
	v_add_f64 v[25:26], v[17:18], -v[25:26]
	v_add_f64 v[27:28], v[19:20], -v[27:28]
	s_waitcnt vmcnt(4)
	v_add_f64 v[29:30], v[21:22], -v[29:30]
	v_add_f64 v[31:32], v[23:24], -v[31:32]
	v_lshl_add_u32 v16, v4, 4, 0
	v_add_f64 v[53:54], v[9:10], -v[53:54]
	v_fma_f64 v[4:5], v[13:14], 2.0, -v[0:1]
	v_fma_f64 v[6:7], v[45:46], 2.0, -v[2:3]
	v_add_u32_e32 v64, v16, v47
	v_add_f64 v[55:56], v[11:12], -v[55:56]
	ds_write_b128 v64, v[0:3] offset:576
	ds_write_b128 v64, v[4:7] offset:192
	v_fma_f64 v[0:1], v[9:10], 2.0, -v[53:54]
	v_fma_f64 v[4:5], v[17:18], 2.0, -v[25:26]
	;; [unrolled: 1-line block ×6, first 2 shown]
	v_add_f64 v[18:19], v[29:30], v[27:28]
	v_add_f64 v[20:21], v[31:32], -v[25:26]
	ds_write_b128 v64, v[53:56] offset:384
	ds_write_b128 v64, v[0:3]
	s_waitcnt vmcnt(2)
	v_add_f64 v[8:9], v[37:38], -v[33:34]
	v_add_f64 v[14:15], v[39:40], -v[35:36]
	s_waitcnt vmcnt(0)
	v_add_f64 v[34:35], v[41:42], -v[49:50]
	v_add_f64 v[49:50], v[43:44], -v[51:52]
	;; [unrolled: 1-line block ×4, first 2 shown]
	v_fma_f64 v[26:27], v[29:30], 2.0, -v[18:19]
	v_fma_f64 v[28:29], v[31:32], 2.0, -v[20:21]
	;; [unrolled: 1-line block ×8, first 2 shown]
	s_load_dwordx2 s[4:5], s[6:7], 0x0
	v_add_u32_e32 v17, 0x3000, v16
	v_add_f64 v[0:1], v[10:11], -v[4:5]
	v_add_f64 v[2:3], v[12:13], -v[6:7]
	v_add_f64 v[4:5], v[8:9], v[49:50]
	v_add_f64 v[6:7], v[14:15], -v[34:35]
	v_add_u32_e32 v34, v17, v47
	ds_write_b128 v34, v[26:29] offset:192
	ds_write_b128 v34, v[22:25] offset:384
	ds_write_b128 v34, v[30:33]
	ds_write_b128 v34, v[18:21] offset:576
	s_and_saveexec_b64 s[6:7], s[2:3]
	s_cbranch_execz .LBB0_16
; %bb.15:
	v_fma_f64 v[20:21], v[12:13], 2.0, -v[2:3]
	v_fma_f64 v[18:19], v[10:11], 2.0, -v[0:1]
	;; [unrolled: 1-line block ×4, first 2 shown]
	v_lshl_add_u32 v8, v58, 4, v17
	ds_write_b128 v8, v[0:3] offset:12672
	ds_write_b128 v8, v[18:21] offset:12288
	;; [unrolled: 1-line block ×4, first 2 shown]
.LBB0_16:
	s_or_b64 exec, exec, s[6:7]
	v_and_b32_e32 v38, 3, v57
	v_mul_u32_u24_e32 v8, 9, v38
	v_lshlrev_b32_e32 v62, 4, v8
	s_waitcnt lgkmcnt(0)
	s_barrier
	global_load_dwordx4 v[8:11], v62, s[28:29]
	global_load_dwordx4 v[12:15], v62, s[28:29] offset:16
	global_load_dwordx4 v[18:21], v62, s[28:29] offset:32
	;; [unrolled: 1-line block ×5, first 2 shown]
	v_lshlrev_b32_e32 v39, 4, v58
	v_mul_i32_i24_e32 v30, 0xfffffdc0, v61
	v_add3_u32 v50, v17, v30, v39
	ds_read_b128 v[40:43], v50
	ds_read_b128 v[51:54], v50 offset:3072
	global_load_dwordx4 v[44:47], v62, s[28:29] offset:96
	v_mul_i32_i24_e32 v17, 0xfffffdc0, v57
	v_add3_u32 v49, v16, v17, v39
	s_mov_b32 s14, 0x134454ff
	s_mov_b32 s15, 0xbfee6f0e
	;; [unrolled: 1-line block ×12, first 2 shown]
	s_waitcnt vmcnt(6) lgkmcnt(1)
	v_mul_f64 v[30:31], v[42:43], v[10:11]
	v_mul_f64 v[10:11], v[40:41], v[10:11]
	s_waitcnt vmcnt(5) lgkmcnt(0)
	v_mul_f64 v[36:37], v[53:54], v[14:15]
	v_mul_f64 v[55:56], v[51:52], v[14:15]
	ds_read_b128 v[14:17], v49 offset:9216
	v_fma_f64 v[30:31], v[40:41], v[8:9], v[30:31]
	v_fma_f64 v[10:11], v[42:43], v[8:9], -v[10:11]
	global_load_dwordx4 v[40:43], v62, s[28:29] offset:112
	v_fma_f64 v[8:9], v[51:52], v[12:13], v[36:37]
	v_fma_f64 v[55:56], v[53:54], v[12:13], -v[55:56]
	ds_read_b128 v[51:54], v49 offset:12288
	s_waitcnt vmcnt(5) lgkmcnt(1)
	v_mul_f64 v[12:13], v[16:17], v[20:21]
	v_mul_f64 v[20:21], v[14:15], v[20:21]
	v_fma_f64 v[36:37], v[14:15], v[18:19], v[12:13]
	v_fma_f64 v[12:13], v[16:17], v[18:19], -v[20:21]
	global_load_dwordx4 v[14:17], v62, s[28:29] offset:128
	s_waitcnt vmcnt(5) lgkmcnt(0)
	v_mul_f64 v[18:19], v[53:54], v[24:25]
	v_mul_f64 v[20:21], v[51:52], v[24:25]
	v_fma_f64 v[24:25], v[51:52], v[22:23], v[18:19]
	v_fma_f64 v[22:23], v[53:54], v[22:23], -v[20:21]
	ds_read_b128 v[18:21], v49 offset:15360
	s_waitcnt vmcnt(4) lgkmcnt(0)
	v_mul_f64 v[51:52], v[20:21], v[28:29]
	v_mul_f64 v[28:29], v[18:19], v[28:29]
	v_add_f64 v[66:67], v[8:9], -v[24:25]
	v_fma_f64 v[51:52], v[18:19], v[26:27], v[51:52]
	v_fma_f64 v[26:27], v[20:21], v[26:27], -v[28:29]
	ds_read_b128 v[18:21], v49 offset:18432
	s_waitcnt vmcnt(3) lgkmcnt(0)
	v_mul_f64 v[28:29], v[20:21], v[34:35]
	v_mul_f64 v[34:35], v[18:19], v[34:35]
	v_fma_f64 v[53:54], v[18:19], v[32:33], v[28:29]
	v_fma_f64 v[32:33], v[20:21], v[32:33], -v[34:35]
	ds_read_b128 v[18:21], v49 offset:21504
	s_waitcnt vmcnt(2) lgkmcnt(0)
	v_mul_f64 v[28:29], v[20:21], v[46:47]
	v_mul_f64 v[34:35], v[18:19], v[46:47]
	v_add_f64 v[62:63], v[22:23], v[32:33]
	v_fma_f64 v[46:47], v[18:19], v[44:45], v[28:29]
	v_fma_f64 v[28:29], v[20:21], v[44:45], -v[34:35]
	ds_read_b128 v[18:21], v49 offset:24576
	s_waitcnt vmcnt(1) lgkmcnt(0)
	v_mul_f64 v[34:35], v[20:21], v[42:43]
	v_mul_f64 v[42:43], v[18:19], v[42:43]
	v_fma_f64 v[34:35], v[18:19], v[40:41], v[34:35]
	v_fma_f64 v[40:41], v[20:21], v[40:41], -v[42:43]
	ds_read_b128 v[18:21], v49 offset:27648
	s_waitcnt vmcnt(0) lgkmcnt(0)
	v_mul_f64 v[42:43], v[20:21], v[16:17]
	v_mul_f64 v[16:17], v[18:19], v[16:17]
	v_add_f64 v[44:45], v[8:9], v[34:35]
	v_add_f64 v[64:65], v[55:56], v[40:41]
	v_add_f64 v[68:69], v[34:35], -v[53:54]
	v_add_f64 v[70:71], v[53:54], -v[34:35]
	;; [unrolled: 1-line block ×4, first 2 shown]
	v_fma_f64 v[42:43], v[18:19], v[14:15], v[42:43]
	v_add_f64 v[18:19], v[24:25], v[53:54]
	v_fma_f64 v[20:21], v[20:21], v[14:15], -v[16:17]
	ds_read_b128 v[14:17], v49
	v_add_f64 v[66:67], v[66:67], v[68:69]
	v_add_f64 v[68:69], v[24:25], -v[8:9]
	s_waitcnt lgkmcnt(0)
	s_barrier
	v_fma_f64 v[44:45], v[44:45], -0.5, v[14:15]
	v_fma_f64 v[18:19], v[18:19], -0.5, v[14:15]
	v_add_f64 v[14:15], v[14:15], v[8:9]
	v_fma_f64 v[62:63], v[62:63], -0.5, v[16:17]
	v_fma_f64 v[64:65], v[64:65], -0.5, v[16:17]
	v_add_f64 v[16:17], v[16:17], v[55:56]
	v_add_f64 v[68:69], v[68:69], v[70:71]
	v_add_f64 v[70:71], v[55:56], -v[22:23]
	v_add_f64 v[14:15], v[14:15], v[24:25]
	v_add_f64 v[24:25], v[24:25], -v[53:54]
	v_add_f64 v[16:17], v[16:17], v[22:23]
	v_add_f64 v[70:71], v[70:71], v[72:73]
	v_add_f64 v[72:73], v[22:23], -v[55:56]
	v_add_f64 v[22:23], v[22:23], -v[32:33]
	v_add_f64 v[14:15], v[14:15], v[53:54]
	v_add_f64 v[16:17], v[16:17], v[32:33]
	v_add_f64 v[32:33], v[8:9], -v[34:35]
	v_add_f64 v[72:73], v[72:73], v[74:75]
	v_fma_f64 v[53:54], v[22:23], s[8:9], v[44:45]
	v_add_f64 v[8:9], v[14:15], v[34:35]
	v_add_f64 v[14:15], v[55:56], -v[40:41]
	v_fma_f64 v[44:45], v[22:23], s[14:15], v[44:45]
	v_fma_f64 v[55:56], v[24:25], s[8:9], v[64:65]
	v_fma_f64 v[34:35], v[14:15], s[14:15], v[18:19]
	v_fma_f64 v[18:19], v[14:15], s[8:9], v[18:19]
	v_fma_f64 v[34:35], v[22:23], s[10:11], v[34:35]
	v_fma_f64 v[18:19], v[22:23], s[6:7], v[18:19]
	v_fma_f64 v[22:23], v[14:15], s[10:11], v[53:54]
	v_fma_f64 v[14:15], v[14:15], s[6:7], v[44:45]
	v_add_f64 v[44:45], v[16:17], v[40:41]
	v_fma_f64 v[16:17], v[32:33], s[8:9], v[62:63]
	v_fma_f64 v[40:41], v[32:33], s[14:15], v[62:63]
	;; [unrolled: 1-line block ×15, first 2 shown]
	v_add_f64 v[40:41], v[51:52], v[46:47]
	v_add_f64 v[53:54], v[36:37], -v[51:52]
	v_add_f64 v[62:63], v[42:43], -v[46:47]
	;; [unrolled: 1-line block ×4, first 2 shown]
	v_fma_f64 v[40:41], v[40:41], -0.5, v[30:31]
	v_add_f64 v[53:54], v[53:54], v[62:63]
	v_add_f64 v[62:63], v[12:13], -v[20:21]
	v_fma_f64 v[64:65], v[62:63], s[14:15], v[40:41]
	v_fma_f64 v[40:41], v[62:63], s[8:9], v[40:41]
	;; [unrolled: 1-line block ×6, first 2 shown]
	v_add_f64 v[40:41], v[36:37], v[42:43]
	v_fma_f64 v[40:41], v[40:41], -0.5, v[30:31]
	v_add_f64 v[30:31], v[30:31], v[36:37]
	v_fma_f64 v[53:54], v[66:67], s[8:9], v[40:41]
	v_add_f64 v[30:31], v[30:31], v[51:52]
	v_fma_f64 v[40:41], v[66:67], s[14:15], v[40:41]
	v_add_f64 v[66:67], v[51:52], -v[36:37]
	v_add_f64 v[36:37], v[36:37], -v[42:43]
	v_fma_f64 v[53:54], v[62:63], s[10:11], v[53:54]
	v_add_f64 v[30:31], v[30:31], v[46:47]
	v_fma_f64 v[40:41], v[62:63], s[6:7], v[40:41]
	v_add_f64 v[62:63], v[12:13], v[20:21]
	v_add_f64 v[66:67], v[66:67], v[70:71]
	;; [unrolled: 1-line block ×3, first 2 shown]
	v_add_f64 v[42:43], v[51:52], -v[46:47]
	v_add_f64 v[46:47], v[12:13], -v[26:27]
	;; [unrolled: 1-line block ×3, first 2 shown]
	v_fma_f64 v[62:63], v[62:63], -0.5, v[10:11]
	v_fma_f64 v[40:41], v[66:67], s[12:13], v[40:41]
	v_add_f64 v[46:47], v[46:47], v[51:52]
	v_add_f64 v[51:52], v[26:27], v[28:29]
	v_fma_f64 v[51:52], v[51:52], -0.5, v[10:11]
	v_add_f64 v[10:11], v[10:11], v[12:13]
	v_add_f64 v[12:13], v[26:27], -v[12:13]
	v_add_f64 v[10:11], v[10:11], v[26:27]
	v_add_f64 v[26:27], v[28:29], -v[20:21]
	v_add_f64 v[10:11], v[10:11], v[28:29]
	v_add_f64 v[12:13], v[12:13], v[26:27]
	v_fma_f64 v[26:27], v[42:43], s[14:15], v[62:63]
	v_fma_f64 v[28:29], v[42:43], s[8:9], v[62:63]
	;; [unrolled: 1-line block ×4, first 2 shown]
	v_add_f64 v[10:11], v[10:11], v[20:21]
	v_fma_f64 v[26:27], v[36:37], s[6:7], v[26:27]
	v_fma_f64 v[28:29], v[36:37], s[10:11], v[28:29]
	;; [unrolled: 1-line block ×9, first 2 shown]
	v_mul_f64 v[46:47], v[26:27], s[14:15]
	v_mul_f64 v[51:52], v[12:13], s[14:15]
	s_mov_b32 s15, 0xbfd3c6ef
	s_mov_b32 s14, s12
	v_mul_f64 v[42:43], v[28:29], s[10:11]
	v_mul_f64 v[26:27], v[26:27], s[12:13]
	;; [unrolled: 1-line block ×4, first 2 shown]
	v_fma_f64 v[62:63], v[36:37], s[12:13], v[46:47]
	v_fma_f64 v[70:71], v[40:41], s[14:15], v[51:52]
	;; [unrolled: 1-line block ×5, first 2 shown]
	v_mul_f64 v[36:37], v[20:21], s[10:11]
	s_mov_b32 s9, 0xbfe9e377
	s_mov_b32 s8, s20
	v_mul_f64 v[20:21], v[20:21], s[8:9]
	v_fma_f64 v[64:65], v[64:65], s[6:7], v[28:29]
	v_add_f64 v[28:29], v[44:45], v[10:11]
	v_add_f64 v[42:43], v[44:45], -v[10:11]
	v_add_f64 v[44:45], v[55:56], v[53:54]
	v_add_f64 v[51:52], v[55:56], -v[53:54]
	v_fma_f64 v[55:56], v[68:69], s[8:9], v[36:37]
	v_add_f64 v[26:27], v[8:9], v[30:31]
	v_fma_f64 v[68:69], v[68:69], s[6:7], v[20:21]
	v_add_f64 v[46:47], v[34:35], v[64:65]
	v_add_f64 v[53:54], v[34:35], -v[64:65]
	v_add_f64 v[34:35], v[32:33], v[62:63]
	v_add_f64 v[36:37], v[24:25], v[66:67]
	v_add_f64 v[40:41], v[8:9], -v[30:31]
	v_add_f64 v[30:31], v[32:33], -v[62:63]
	v_add_f64 v[62:63], v[22:23], v[70:71]
	v_add_f64 v[64:65], v[18:19], v[12:13]
	v_add_f64 v[10:11], v[18:19], -v[12:13]
	v_add_f64 v[18:19], v[16:17], v[55:56]
	v_add_f64 v[12:13], v[16:17], -v[55:56]
	v_lshrrev_b32_e32 v16, 2, v57
	v_add_f64 v[20:21], v[14:15], v[68:69]
	v_mul_u32_u24_e32 v16, 40, v16
	v_or_b32_e32 v16, v16, v38
	v_mul_u32_u24_e32 v16, 0xc0, v16
	v_add_f64 v[32:33], v[24:25], -v[66:67]
	v_add3_u32 v16, 0, v16, v39
	v_add_f64 v[8:9], v[22:23], -v[70:71]
	v_add_f64 v[14:15], v[14:15], -v[68:69]
	ds_write_b128 v16, v[26:29]
	ds_write_b128 v16, v[44:47] offset:768
	ds_write_b128 v16, v[34:37] offset:1536
	;; [unrolled: 1-line block ×9, first 2 shown]
	s_waitcnt lgkmcnt(0)
	s_barrier
	ds_read_b128 v[20:23], v49
	ds_read_b128 v[44:47], v49 offset:7680
	ds_read_b128 v[40:43], v49 offset:15360
	;; [unrolled: 1-line block ×3, first 2 shown]
	ds_read_b128 v[16:19], v50
	ds_read_b128 v[32:35], v49 offset:10752
	ds_read_b128 v[28:31], v49 offset:18432
	;; [unrolled: 1-line block ×3, first 2 shown]
	s_and_saveexec_b64 s[6:7], s[2:3]
	s_cbranch_execz .LBB0_18
; %bb.17:
	v_add_u32_e32 v4, 0xc00, v50
	ds_read_b128 v[12:15], v49 offset:13824
	ds_read_b128 v[0:3], v49 offset:21504
	ds_read_b128 v[8:11], v4
	ds_read_b128 v[4:7], v49 offset:29184
.LBB0_18:
	s_or_b64 exec, exec, s[6:7]
	v_mul_u32_u24_e32 v49, 3, v57
	v_lshlrev_b32_e32 v66, 4, v49
	global_load_dwordx4 v[49:52], v66, s[28:29] offset:608
	global_load_dwordx4 v[53:56], v66, s[28:29] offset:592
	;; [unrolled: 1-line block ×3, first 2 shown]
	s_mov_b32 s5, 0x6666667
	v_mov_b32_e32 v75, s29
	s_mul_i32 s4, s4, s30
	s_add_i32 s4, s4, s17
	s_mov_b32 s7, 0x20000
	s_mov_b32 s6, -2
	s_waitcnt vmcnt(0) lgkmcnt(6)
	v_mul_f64 v[66:67], v[46:47], v[64:65]
	v_fma_f64 v[67:68], v[44:45], v[62:63], v[66:67]
	v_mul_f64 v[44:45], v[44:45], v[64:65]
	v_fma_f64 v[69:70], v[46:47], v[62:63], -v[44:45]
	s_waitcnt lgkmcnt(5)
	v_mul_f64 v[44:45], v[42:43], v[55:56]
	v_mul_hi_u32 v63, v61, s5
	v_mul_hi_u32 v62, v60, s5
	s_mov_b32 s5, s23
	v_fma_f64 v[71:72], v[40:41], v[53:54], v[44:45]
	v_mul_f64 v[40:41], v[40:41], v[55:56]
	v_fma_f64 v[53:54], v[42:43], v[53:54], -v[40:41]
	s_waitcnt lgkmcnt(4)
	v_mul_f64 v[40:41], v[38:39], v[51:52]
	v_fma_f64 v[55:56], v[36:37], v[49:50], v[40:41]
	v_mul_f64 v[36:37], v[36:37], v[51:52]
	v_mov_b32_e32 v52, 0
	v_fma_f64 v[49:50], v[38:39], v[49:50], -v[36:37]
	v_mul_u32_u24_e32 v36, 40, v63
	v_sub_u32_e32 v66, v61, v36
	v_mul_i32_i24_e32 v51, 3, v66
	v_lshlrev_b64 v[36:37], 4, v[51:52]
	v_add_co_u32_e64 v64, s[2:3], s28, v36
	v_addc_co_u32_e64 v65, s[2:3], v75, v37, s[2:3]
	global_load_dwordx4 v[36:39], v[64:65], off offset:608
	global_load_dwordx4 v[40:43], v[64:65], off offset:592
	;; [unrolled: 1-line block ×3, first 2 shown]
	s_waitcnt vmcnt(0) lgkmcnt(2)
	v_mul_f64 v[64:65], v[34:35], v[46:47]
	v_fma_f64 v[73:74], v[32:33], v[44:45], v[64:65]
	v_mul_f64 v[32:33], v[32:33], v[46:47]
	v_mul_lo_u32 v65, v48, 40
	v_fma_f64 v[44:45], v[34:35], v[44:45], -v[32:33]
	s_waitcnt lgkmcnt(1)
	v_mul_f64 v[32:33], v[30:31], v[42:43]
	v_fma_f64 v[46:47], v[28:29], v[40:41], v[32:33]
	v_mul_f64 v[28:29], v[28:29], v[42:43]
	v_fma_f64 v[40:41], v[30:31], v[40:41], -v[28:29]
	s_waitcnt lgkmcnt(0)
	v_mul_f64 v[28:29], v[26:27], v[38:39]
	v_fma_f64 v[42:43], v[24:25], v[36:37], v[28:29]
	v_mul_f64 v[24:25], v[24:25], v[38:39]
	v_fma_f64 v[36:37], v[26:27], v[36:37], -v[24:25]
	v_mul_u32_u24_e32 v24, 40, v62
	v_sub_u32_e32 v64, v60, v24
	v_mul_i32_i24_e32 v51, 3, v64
	v_lshlrev_b64 v[24:25], 4, v[51:52]
	v_add_co_u32_e64 v38, s[2:3], s28, v24
	v_addc_co_u32_e64 v39, s[2:3], v75, v25, s[2:3]
	global_load_dwordx4 v[24:27], v[38:39], off offset:608
	global_load_dwordx4 v[28:31], v[38:39], off offset:592
	;; [unrolled: 1-line block ×3, first 2 shown]
	s_add_i32 s2, 0, 0x7800
	s_movk_i32 s3, 0x78
	s_waitcnt vmcnt(0)
	v_mul_f64 v[38:39], v[14:15], v[34:35]
	v_fma_f64 v[38:39], v[12:13], v[32:33], v[38:39]
	v_mul_f64 v[12:13], v[12:13], v[34:35]
	v_fma_f64 v[32:33], v[14:15], v[32:33], -v[12:13]
	v_mul_f64 v[12:13], v[2:3], v[30:31]
	v_fma_f64 v[34:35], v[0:1], v[28:29], v[12:13]
	v_mul_f64 v[0:1], v[0:1], v[30:31]
	v_add_f64 v[30:31], v[44:45], -v[36:37]
	v_fma_f64 v[0:1], v[2:3], v[28:29], -v[0:1]
	v_mul_f64 v[2:3], v[6:7], v[26:27]
	v_add_f64 v[0:1], v[10:11], -v[0:1]
	v_fma_f64 v[2:3], v[4:5], v[24:25], v[2:3]
	v_mul_f64 v[4:5], v[4:5], v[26:27]
	v_add_f64 v[26:27], v[69:70], -v[49:50]
	v_fma_f64 v[10:11], v[10:11], 2.0, -v[0:1]
	v_add_f64 v[2:3], v[38:39], -v[2:3]
	v_fma_f64 v[4:5], v[6:7], v[24:25], -v[4:5]
	v_add_f64 v[6:7], v[20:21], -v[71:72]
	v_add_f64 v[24:25], v[22:23], -v[53:54]
	v_fma_f64 v[28:29], v[69:70], 2.0, -v[26:27]
	v_add_f64 v[4:5], v[32:33], -v[4:5]
	v_fma_f64 v[14:15], v[20:21], 2.0, -v[6:7]
	v_fma_f64 v[20:21], v[22:23], 2.0, -v[24:25]
	v_add_f64 v[22:23], v[67:68], -v[55:56]
	v_fma_f64 v[32:33], v[32:33], 2.0, -v[4:5]
	v_add_f64 v[53:54], v[20:21], -v[28:29]
	v_add_f64 v[51:52], v[24:25], -v[22:23]
	v_fma_f64 v[12:13], v[67:68], 2.0, -v[22:23]
	v_add_f64 v[22:23], v[16:17], -v[46:47]
	v_fma_f64 v[28:29], v[44:45], 2.0, -v[30:31]
	v_fma_f64 v[69:70], v[20:21], 2.0, -v[53:54]
	;; [unrolled: 1-line block ×3, first 2 shown]
	v_add_f64 v[24:25], v[18:19], -v[40:41]
	v_add_f64 v[40:41], v[73:74], -v[42:43]
	;; [unrolled: 1-line block ×3, first 2 shown]
	v_fma_f64 v[16:17], v[16:17], 2.0, -v[22:23]
	v_add_f64 v[30:31], v[22:23], v[30:31]
	v_fma_f64 v[20:21], v[18:19], 2.0, -v[24:25]
	v_fma_f64 v[18:19], v[73:74], 2.0, -v[40:41]
	;; [unrolled: 1-line block ×3, first 2 shown]
	v_add_f64 v[14:15], v[6:7], v[26:27]
	v_add_f64 v[49:50], v[24:25], -v[40:41]
	v_fma_f64 v[22:23], v[22:23], 2.0, -v[30:31]
	v_add_f64 v[28:29], v[20:21], -v[28:29]
	v_add_f64 v[26:27], v[16:17], -v[18:19]
	v_fma_f64 v[6:7], v[6:7], 2.0, -v[14:15]
	v_fma_f64 v[24:25], v[24:25], 2.0, -v[49:50]
	;; [unrolled: 1-line block ×4, first 2 shown]
	v_add_f64 v[16:17], v[8:9], -v[34:35]
	v_fma_f64 v[34:35], v[38:39], 2.0, -v[2:3]
	v_add_f64 v[38:39], v[10:11], -v[32:33]
	v_fma_f64 v[8:9], v[8:9], 2.0, -v[16:17]
	v_add_f64 v[32:33], v[16:17], v[4:5]
	v_fma_f64 v[46:47], v[10:11], 2.0, -v[38:39]
	v_add_f64 v[36:37], v[8:9], -v[34:35]
	v_add_f64 v[34:35], v[0:1], -v[2:3]
	v_fma_f64 v[40:41], v[16:17], 2.0, -v[32:33]
	v_mul_lo_u32 v16, v57, v48
	v_lshrrev_b32_e32 v4, 2, v16
	v_and_b32_e32 v4, 0x3f0, v4
	v_fma_f64 v[42:43], v[0:1], 2.0, -v[34:35]
	v_and_b32_e32 v0, 63, v16
	v_lshl_add_u32 v0, v0, 4, 0
	v_add_u32_e32 v4, s2, v4
	v_fma_f64 v[44:45], v[8:9], 2.0, -v[36:37]
	ds_read_b128 v[0:3], v0 offset:30720
	ds_read_b128 v[8:11], v4 offset:1024
	v_add_u32_e32 v71, v16, v65
	s_waitcnt lgkmcnt(0)
	v_mul_f64 v[4:5], v[2:3], v[10:11]
	v_fma_f64 v[4:5], v[0:1], v[8:9], -v[4:5]
	v_mul_f64 v[0:1], v[0:1], v[10:11]
	v_fma_f64 v[8:9], v[2:3], v[8:9], v[0:1]
	v_lshrrev_b32_e32 v0, 8, v16
	v_and_b32_e32 v0, 0x3f0, v0
	v_add_u32_e32 v0, s2, v0
	ds_read_b128 v[0:3], v0 offset:2048
	s_waitcnt lgkmcnt(0)
	v_mul_f64 v[10:11], v[8:9], v[2:3]
	v_mul_f64 v[2:3], v[4:5], v[2:3]
	v_fma_f64 v[10:11], v[0:1], v[4:5], -v[10:11]
	v_fma_f64 v[2:3], v[0:1], v[8:9], v[2:3]
	v_and_b32_e32 v4, 63, v71
	v_lshl_add_u32 v4, v4, 4, 0
	v_mul_f64 v[0:1], v[69:70], v[2:3]
	v_mul_f64 v[2:3], v[67:68], v[2:3]
	v_fma_f64 v[0:1], v[67:68], v[10:11], v[0:1]
	v_fma_f64 v[2:3], v[69:70], v[10:11], -v[2:3]
	ds_read_b128 v[8:11], v4 offset:30720
	v_lshrrev_b32_e32 v4, 2, v71
	v_and_b32_e32 v4, 0x3f0, v4
	v_add_u32_e32 v4, s2, v4
	ds_read_b128 v[67:70], v4 offset:1024
	s_waitcnt lgkmcnt(0)
	v_mul_f64 v[4:5], v[10:11], v[69:70]
	v_fma_f64 v[4:5], v[8:9], v[67:68], -v[4:5]
	v_mul_f64 v[8:9], v[8:9], v[69:70]
	v_fma_f64 v[16:17], v[10:11], v[67:68], v[8:9]
	v_lshrrev_b32_e32 v8, 8, v71
	v_and_b32_e32 v8, 0x3f0, v8
	v_add_u32_e32 v8, s2, v8
	ds_read_b128 v[8:11], v8 offset:2048
	v_add_u32_e32 v71, v71, v65
	s_waitcnt lgkmcnt(0)
	v_mul_f64 v[67:68], v[16:17], v[10:11]
	v_fma_f64 v[67:68], v[8:9], v[4:5], -v[67:68]
	v_mul_f64 v[4:5], v[4:5], v[10:11]
	v_fma_f64 v[8:9], v[8:9], v[16:17], v[4:5]
	v_lshrrev_b32_e32 v16, 2, v71
	v_and_b32_e32 v16, 0x3f0, v16
	v_add_u32_e32 v16, s2, v16
	v_mul_f64 v[4:5], v[55:56], v[8:9]
	v_fma_f64 v[4:5], v[6:7], v[67:68], v[4:5]
	v_mul_f64 v[6:7], v[6:7], v[8:9]
	v_and_b32_e32 v8, 63, v71
	v_lshl_add_u32 v8, v8, 4, 0
	ds_read_b128 v[8:11], v8 offset:30720
	v_fma_f64 v[6:7], v[55:56], v[67:68], -v[6:7]
	ds_read_b128 v[67:70], v16 offset:1024
	s_waitcnt lgkmcnt(0)
	v_mul_f64 v[16:17], v[10:11], v[69:70]
	v_fma_f64 v[16:17], v[8:9], v[67:68], -v[16:17]
	v_mul_f64 v[8:9], v[8:9], v[69:70]
	v_fma_f64 v[55:56], v[10:11], v[67:68], v[8:9]
	v_lshrrev_b32_e32 v8, 8, v71
	v_and_b32_e32 v8, 0x3f0, v8
	v_add_u32_e32 v8, s2, v8
	ds_read_b128 v[8:11], v8 offset:2048
	v_add_u32_e32 v71, v71, v65
	s_waitcnt lgkmcnt(0)
	v_mul_f64 v[67:68], v[55:56], v[10:11]
	v_mul_f64 v[10:11], v[16:17], v[10:11]
	v_fma_f64 v[67:68], v[8:9], v[16:17], -v[67:68]
	v_fma_f64 v[10:11], v[8:9], v[55:56], v[10:11]
	v_mul_f64 v[8:9], v[53:54], v[10:11]
	v_mul_f64 v[10:11], v[12:13], v[10:11]
	v_fma_f64 v[8:9], v[12:13], v[67:68], v[8:9]
	v_and_b32_e32 v12, 63, v71
	v_lshl_add_u32 v12, v12, 4, 0
	v_fma_f64 v[10:11], v[53:54], v[67:68], -v[10:11]
	ds_read_b128 v[53:56], v12 offset:30720
	v_lshrrev_b32_e32 v12, 2, v71
	v_and_b32_e32 v12, 0x3f0, v12
	v_add_u32_e32 v12, s2, v12
	ds_read_b128 v[67:70], v12 offset:1024
	s_waitcnt lgkmcnt(0)
	v_mul_f64 v[12:13], v[55:56], v[69:70]
	v_mul_f64 v[16:17], v[53:54], v[69:70]
	v_mul_lo_u32 v70, v66, v48
	v_fma_f64 v[12:13], v[53:54], v[67:68], -v[12:13]
	v_fma_f64 v[16:17], v[55:56], v[67:68], v[16:17]
	v_lshrrev_b32_e32 v53, 8, v71
	v_and_b32_e32 v53, 0x3f0, v53
	v_add_u32_e32 v53, s2, v53
	ds_read_b128 v[53:56], v53 offset:2048
	s_waitcnt lgkmcnt(0)
	v_mul_f64 v[67:68], v[16:17], v[55:56]
	v_fma_f64 v[67:68], v[53:54], v[12:13], -v[67:68]
	v_mul_f64 v[12:13], v[12:13], v[55:56]
	v_fma_f64 v[16:17], v[53:54], v[16:17], v[12:13]
	v_mul_f64 v[12:13], v[51:52], v[16:17]
	v_fma_f64 v[12:13], v[14:15], v[67:68], v[12:13]
	v_mul_f64 v[14:15], v[14:15], v[16:17]
	v_and_b32_e32 v16, 63, v70
	v_lshl_add_u32 v16, v16, 4, 0
	v_fma_f64 v[14:15], v[51:52], v[67:68], -v[14:15]
	ds_read_b128 v[51:54], v16 offset:30720
	v_lshrrev_b32_e32 v16, 2, v70
	v_and_b32_e32 v16, 0x3f0, v16
	v_add_u32_e32 v16, s2, v16
	ds_read_b128 v[66:69], v16 offset:1024
	s_waitcnt lgkmcnt(0)
	v_mul_f64 v[16:17], v[53:54], v[68:69]
	v_fma_f64 v[16:17], v[51:52], v[66:67], -v[16:17]
	v_mul_f64 v[51:52], v[51:52], v[68:69]
	v_fma_f64 v[55:56], v[53:54], v[66:67], v[51:52]
	v_lshrrev_b32_e32 v51, 8, v70
	v_and_b32_e32 v51, 0x3f0, v51
	v_add_u32_e32 v51, s2, v51
	ds_read_b128 v[51:54], v51 offset:2048
	v_add_u32_e32 v70, v70, v65
	s_waitcnt lgkmcnt(0)
	v_mul_f64 v[66:67], v[55:56], v[53:54]
	v_fma_f64 v[66:67], v[51:52], v[16:17], -v[66:67]
	v_mul_f64 v[16:17], v[16:17], v[53:54]
	v_fma_f64 v[51:52], v[51:52], v[55:56], v[16:17]
	v_mul_f64 v[16:17], v[20:21], v[51:52]
	v_fma_f64 v[16:17], v[18:19], v[66:67], v[16:17]
	v_mul_f64 v[18:19], v[18:19], v[51:52]
	v_fma_f64 v[18:19], v[20:21], v[66:67], -v[18:19]
	v_and_b32_e32 v20, 63, v70
	v_lshl_add_u32 v20, v20, 4, 0
	ds_read_b128 v[51:54], v20 offset:30720
	v_lshrrev_b32_e32 v20, 2, v70
	v_and_b32_e32 v20, 0x3f0, v20
	v_add_u32_e32 v20, s2, v20
	ds_read_b128 v[66:69], v20 offset:1024
	s_waitcnt lgkmcnt(0)
	v_mul_f64 v[20:21], v[53:54], v[68:69]
	v_fma_f64 v[20:21], v[51:52], v[66:67], -v[20:21]
	v_mul_f64 v[51:52], v[51:52], v[68:69]
	v_fma_f64 v[55:56], v[53:54], v[66:67], v[51:52]
	v_lshrrev_b32_e32 v51, 8, v70
	v_and_b32_e32 v51, 0x3f0, v51
	v_add_u32_e32 v51, s2, v51
	ds_read_b128 v[51:54], v51 offset:2048
	v_add_u32_e32 v70, v70, v65
	s_waitcnt lgkmcnt(0)
	v_mul_f64 v[66:67], v[55:56], v[53:54]
	v_fma_f64 v[66:67], v[51:52], v[20:21], -v[66:67]
	v_mul_f64 v[20:21], v[20:21], v[53:54]
	v_fma_f64 v[51:52], v[51:52], v[55:56], v[20:21]
	v_mul_f64 v[20:21], v[24:25], v[51:52]
	v_fma_f64 v[20:21], v[22:23], v[66:67], v[20:21]
	v_mul_f64 v[22:23], v[22:23], v[51:52]
	v_fma_f64 v[22:23], v[24:25], v[66:67], -v[22:23]
	v_and_b32_e32 v24, 63, v70
	v_lshl_add_u32 v24, v24, 4, 0
	;; [unrolled: 26-line block ×3, first 2 shown]
	ds_read_b128 v[51:54], v28 offset:30720
	v_lshrrev_b32_e32 v28, 2, v70
	v_and_b32_e32 v28, 0x3f0, v28
	v_add_u32_e32 v28, s2, v28
	ds_read_b128 v[66:69], v28 offset:1024
	s_waitcnt lgkmcnt(0)
	v_mul_f64 v[28:29], v[53:54], v[68:69]
	v_fma_f64 v[28:29], v[51:52], v[66:67], -v[28:29]
	v_mul_f64 v[51:52], v[51:52], v[68:69]
	v_fma_f64 v[55:56], v[53:54], v[66:67], v[51:52]
	v_lshrrev_b32_e32 v51, 8, v70
	v_and_b32_e32 v51, 0x3f0, v51
	v_add_u32_e32 v51, s2, v51
	ds_read_b128 v[51:54], v51 offset:2048
	s_waitcnt lgkmcnt(0)
	v_mul_f64 v[66:67], v[55:56], v[53:54]
	v_fma_f64 v[66:67], v[51:52], v[28:29], -v[66:67]
	v_mul_f64 v[28:29], v[28:29], v[53:54]
	v_fma_f64 v[51:52], v[51:52], v[55:56], v[28:29]
	v_mul_lo_u32 v56, v64, v48
	v_and_b32_e32 v48, 63, v56
	v_lshl_add_u32 v48, v48, 4, 0
	v_mul_f64 v[28:29], v[49:50], v[51:52]
	v_fma_f64 v[28:29], v[30:31], v[66:67], v[28:29]
	v_mul_f64 v[30:31], v[30:31], v[51:52]
	v_lshrrev_b32_e32 v52, 2, v56
	v_and_b32_e32 v52, 0x3f0, v52
	v_add_u32_e32 v52, s2, v52
	ds_read_b128 v[52:55], v52 offset:1024
	v_fma_f64 v[30:31], v[49:50], v[66:67], -v[30:31]
	ds_read_b128 v[48:51], v48 offset:30720
	s_waitcnt lgkmcnt(0)
	v_mul_f64 v[66:67], v[50:51], v[54:55]
	v_fma_f64 v[66:67], v[48:49], v[52:53], -v[66:67]
	v_mul_f64 v[48:49], v[48:49], v[54:55]
	v_fma_f64 v[52:53], v[50:51], v[52:53], v[48:49]
	v_lshrrev_b32_e32 v48, 8, v56
	v_and_b32_e32 v48, 0x3f0, v48
	v_add_u32_e32 v48, s2, v48
	ds_read_b128 v[48:51], v48 offset:2048
	v_add_u32_e32 v56, v56, v65
	s_waitcnt lgkmcnt(0)
	v_mul_f64 v[54:55], v[52:53], v[50:51]
	v_mul_f64 v[50:51], v[66:67], v[50:51]
	v_fma_f64 v[54:55], v[48:49], v[66:67], -v[54:55]
	v_fma_f64 v[50:51], v[48:49], v[52:53], v[50:51]
	v_lshrrev_b32_e32 v52, 2, v56
	v_and_b32_e32 v52, 0x3f0, v52
	v_add_u32_e32 v52, s2, v52
	v_mul_f64 v[48:49], v[46:47], v[50:51]
	v_fma_f64 v[48:49], v[44:45], v[54:55], v[48:49]
	v_mul_f64 v[44:45], v[44:45], v[50:51]
	v_fma_f64 v[50:51], v[46:47], v[54:55], -v[44:45]
	v_and_b32_e32 v44, 63, v56
	v_lshl_add_u32 v44, v44, 4, 0
	ds_read_b128 v[44:47], v44 offset:30720
	ds_read_b128 v[52:55], v52 offset:1024
	s_waitcnt lgkmcnt(0)
	v_mul_f64 v[66:67], v[46:47], v[54:55]
	v_fma_f64 v[66:67], v[44:45], v[52:53], -v[66:67]
	v_mul_f64 v[44:45], v[44:45], v[54:55]
	v_fma_f64 v[52:53], v[46:47], v[52:53], v[44:45]
	v_lshrrev_b32_e32 v44, 8, v56
	v_and_b32_e32 v44, 0x3f0, v44
	v_add_u32_e32 v44, s2, v44
	ds_read_b128 v[44:47], v44 offset:2048
	v_add_u32_e32 v56, v56, v65
	s_waitcnt lgkmcnt(0)
	v_mul_f64 v[54:55], v[52:53], v[46:47]
	v_mul_f64 v[46:47], v[66:67], v[46:47]
	v_fma_f64 v[54:55], v[44:45], v[66:67], -v[54:55]
	v_fma_f64 v[46:47], v[44:45], v[52:53], v[46:47]
	v_lshrrev_b32_e32 v52, 2, v56
	v_and_b32_e32 v52, 0x3f0, v52
	v_add_u32_e32 v52, s2, v52
	v_mul_f64 v[44:45], v[42:43], v[46:47]
	v_fma_f64 v[44:45], v[40:41], v[54:55], v[44:45]
	v_mul_f64 v[40:41], v[40:41], v[46:47]
	v_fma_f64 v[46:47], v[42:43], v[54:55], -v[40:41]
	v_and_b32_e32 v40, 63, v56
	v_lshl_add_u32 v40, v40, 4, 0
	ds_read_b128 v[40:43], v40 offset:30720
	;; [unrolled: 26-line block ×3, first 2 shown]
	ds_read_b128 v[52:55], v52 offset:1024
	s_waitcnt lgkmcnt(0)
	v_mul_f64 v[64:65], v[38:39], v[54:55]
	v_fma_f64 v[64:65], v[36:37], v[52:53], -v[64:65]
	v_mul_f64 v[36:37], v[36:37], v[54:55]
	v_fma_f64 v[52:53], v[38:39], v[52:53], v[36:37]
	v_lshrrev_b32_e32 v36, 8, v56
	v_and_b32_e32 v36, 0x3f0, v36
	v_add_u32_e32 v36, s2, v36
	ds_read_b128 v[36:39], v36 offset:2048
	s_lshl_b32 s2, s4, 4
	s_mov_b32 s4, s22
	s_waitcnt lgkmcnt(0)
	v_mul_f64 v[54:55], v[52:53], v[38:39]
	v_mul_f64 v[38:39], v[64:65], v[38:39]
	v_fma_f64 v[54:55], v[36:37], v[64:65], -v[54:55]
	v_fma_f64 v[38:39], v[36:37], v[52:53], v[38:39]
	v_mul_f64 v[36:37], v[34:35], v[38:39]
	v_fma_f64 v[36:37], v[32:33], v[54:55], v[36:37]
	v_mul_f64 v[32:33], v[32:33], v[38:39]
	v_fma_f64 v[38:39], v[34:35], v[54:55], -v[32:33]
	v_mul_lo_u32 v32, s18, v58
	v_mul_lo_u32 v33, s16, v57
	v_add_lshl_u32 v33, v32, v33, 4
	v_cndmask_b32_e32 v33, -1, v33, vcc
	buffer_store_dwordx4 v[0:3], v33, s[4:7], s2 offen
	v_mul_lo_u32 v0, s16, v59
	v_add_lshl_u32 v0, v32, v0, 4
	v_cndmask_b32_e32 v0, -1, v0, vcc
	buffer_store_dwordx4 v[4:7], v0, s[4:7], s2 offen
	v_add_u32_e32 v0, 0x50, v57
	v_mul_lo_u32 v0, s16, v0
	v_add_lshl_u32 v0, v32, v0, 4
	v_cndmask_b32_e32 v0, -1, v0, vcc
	buffer_store_dwordx4 v[8:11], v0, s[4:7], s2 offen
	v_add_u32_e32 v0, 0x78, v57
	v_mul_lo_u32 v0, s16, v0
	v_add_lshl_u32 v0, v32, v0, 4
	v_cndmask_b32_e32 v0, -1, v0, vcc
	buffer_store_dwordx4 v[12:15], v0, s[4:7], s2 offen
	v_mad_u32_u24 v0, v63, s3, v61
	v_mul_lo_u32 v1, s16, v0
	v_add_lshl_u32 v1, v32, v1, 4
	v_cndmask_b32_e32 v1, -1, v1, vcc
	buffer_store_dwordx4 v[16:19], v1, s[4:7], s2 offen
	v_add_u32_e32 v1, 40, v0
	v_mul_lo_u32 v1, s16, v1
	v_add_lshl_u32 v1, v32, v1, 4
	v_cndmask_b32_e32 v1, -1, v1, vcc
	buffer_store_dwordx4 v[20:23], v1, s[4:7], s2 offen
	v_add_u32_e32 v1, 0x50, v0
	v_add_u32_e32 v0, 0x78, v0
	v_mul_lo_u32 v1, s16, v1
	v_mul_lo_u32 v0, s16, v0
	v_add_lshl_u32 v1, v32, v1, 4
	v_add_lshl_u32 v0, v32, v0, 4
	v_cndmask_b32_e32 v1, -1, v1, vcc
	v_cndmask_b32_e32 v0, -1, v0, vcc
	buffer_store_dwordx4 v[24:27], v1, s[4:7], s2 offen
	buffer_store_dwordx4 v[28:31], v0, s[4:7], s2 offen
	v_mad_u32_u24 v0, v62, s3, v60
	v_mul_lo_u32 v1, s16, v0
	v_add_lshl_u32 v1, v32, v1, 4
	v_cndmask_b32_e64 v1, -1, v1, s[0:1]
	buffer_store_dwordx4 v[48:51], v1, s[4:7], s2 offen
	v_add_u32_e32 v1, 40, v0
	v_mul_lo_u32 v1, s16, v1
	v_add_lshl_u32 v1, v32, v1, 4
	v_cndmask_b32_e64 v1, -1, v1, s[0:1]
	buffer_store_dwordx4 v[44:47], v1, s[4:7], s2 offen
	v_add_u32_e32 v1, 0x50, v0
	v_add_u32_e32 v0, 0x78, v0
	v_mul_lo_u32 v1, s16, v1
	v_mul_lo_u32 v0, s16, v0
	v_add_lshl_u32 v1, v32, v1, 4
	v_add_lshl_u32 v0, v32, v0, 4
	v_cndmask_b32_e64 v1, -1, v1, s[0:1]
	v_cndmask_b32_e64 v0, -1, v0, s[0:1]
	buffer_store_dwordx4 v[40:43], v1, s[4:7], s2 offen
	buffer_store_dwordx4 v[36:39], v0, s[4:7], s2 offen
	s_endpgm
	.section	.rodata,"a",@progbits
	.p2align	6, 0x0
	.amdhsa_kernel fft_rtc_back_len160_factors_4_10_4_wgs_192_tpt_16_dp_op_CI_CI_sbcc_twdbase6_3step_dirReg_intrinsicReadWrite
		.amdhsa_group_segment_fixed_size 0
		.amdhsa_private_segment_fixed_size 0
		.amdhsa_kernarg_size 112
		.amdhsa_user_sgpr_count 6
		.amdhsa_user_sgpr_private_segment_buffer 1
		.amdhsa_user_sgpr_dispatch_ptr 0
		.amdhsa_user_sgpr_queue_ptr 0
		.amdhsa_user_sgpr_kernarg_segment_ptr 1
		.amdhsa_user_sgpr_dispatch_id 0
		.amdhsa_user_sgpr_flat_scratch_init 0
		.amdhsa_user_sgpr_private_segment_size 0
		.amdhsa_uses_dynamic_stack 0
		.amdhsa_system_sgpr_private_segment_wavefront_offset 0
		.amdhsa_system_sgpr_workgroup_id_x 1
		.amdhsa_system_sgpr_workgroup_id_y 0
		.amdhsa_system_sgpr_workgroup_id_z 0
		.amdhsa_system_sgpr_workgroup_info 0
		.amdhsa_system_vgpr_workitem_id 0
		.amdhsa_next_free_vgpr 76
		.amdhsa_next_free_sgpr 51
		.amdhsa_reserve_vcc 1
		.amdhsa_reserve_flat_scratch 0
		.amdhsa_float_round_mode_32 0
		.amdhsa_float_round_mode_16_64 0
		.amdhsa_float_denorm_mode_32 3
		.amdhsa_float_denorm_mode_16_64 3
		.amdhsa_dx10_clamp 1
		.amdhsa_ieee_mode 1
		.amdhsa_fp16_overflow 0
		.amdhsa_exception_fp_ieee_invalid_op 0
		.amdhsa_exception_fp_denorm_src 0
		.amdhsa_exception_fp_ieee_div_zero 0
		.amdhsa_exception_fp_ieee_overflow 0
		.amdhsa_exception_fp_ieee_underflow 0
		.amdhsa_exception_fp_ieee_inexact 0
		.amdhsa_exception_int_div_zero 0
	.end_amdhsa_kernel
	.text
.Lfunc_end0:
	.size	fft_rtc_back_len160_factors_4_10_4_wgs_192_tpt_16_dp_op_CI_CI_sbcc_twdbase6_3step_dirReg_intrinsicReadWrite, .Lfunc_end0-fft_rtc_back_len160_factors_4_10_4_wgs_192_tpt_16_dp_op_CI_CI_sbcc_twdbase6_3step_dirReg_intrinsicReadWrite
                                        ; -- End function
	.section	.AMDGPU.csdata,"",@progbits
; Kernel info:
; codeLenInByte = 8360
; NumSgprs: 55
; NumVgprs: 76
; ScratchSize: 0
; MemoryBound: 0
; FloatMode: 240
; IeeeMode: 1
; LDSByteSize: 0 bytes/workgroup (compile time only)
; SGPRBlocks: 6
; VGPRBlocks: 18
; NumSGPRsForWavesPerEU: 55
; NumVGPRsForWavesPerEU: 76
; Occupancy: 3
; WaveLimiterHint : 0
; COMPUTE_PGM_RSRC2:SCRATCH_EN: 0
; COMPUTE_PGM_RSRC2:USER_SGPR: 6
; COMPUTE_PGM_RSRC2:TRAP_HANDLER: 0
; COMPUTE_PGM_RSRC2:TGID_X_EN: 1
; COMPUTE_PGM_RSRC2:TGID_Y_EN: 0
; COMPUTE_PGM_RSRC2:TGID_Z_EN: 0
; COMPUTE_PGM_RSRC2:TIDIG_COMP_CNT: 0
	.type	__hip_cuid_b0fc91feaabfd89,@object ; @__hip_cuid_b0fc91feaabfd89
	.section	.bss,"aw",@nobits
	.globl	__hip_cuid_b0fc91feaabfd89
__hip_cuid_b0fc91feaabfd89:
	.byte	0                               ; 0x0
	.size	__hip_cuid_b0fc91feaabfd89, 1

	.ident	"AMD clang version 19.0.0git (https://github.com/RadeonOpenCompute/llvm-project roc-6.4.0 25133 c7fe45cf4b819c5991fe208aaa96edf142730f1d)"
	.section	".note.GNU-stack","",@progbits
	.addrsig
	.addrsig_sym __hip_cuid_b0fc91feaabfd89
	.amdgpu_metadata
---
amdhsa.kernels:
  - .args:
      - .actual_access:  read_only
        .address_space:  global
        .offset:         0
        .size:           8
        .value_kind:     global_buffer
      - .address_space:  global
        .offset:         8
        .size:           8
        .value_kind:     global_buffer
      - .offset:         16
        .size:           8
        .value_kind:     by_value
      - .actual_access:  read_only
        .address_space:  global
        .offset:         24
        .size:           8
        .value_kind:     global_buffer
      - .actual_access:  read_only
        .address_space:  global
        .offset:         32
        .size:           8
        .value_kind:     global_buffer
      - .actual_access:  read_only
        .address_space:  global
        .offset:         40
        .size:           8
        .value_kind:     global_buffer
      - .offset:         48
        .size:           8
        .value_kind:     by_value
      - .actual_access:  read_only
        .address_space:  global
        .offset:         56
        .size:           8
        .value_kind:     global_buffer
      - .actual_access:  read_only
        .address_space:  global
        .offset:         64
        .size:           8
        .value_kind:     global_buffer
      - .offset:         72
        .size:           4
        .value_kind:     by_value
      - .actual_access:  read_only
        .address_space:  global
        .offset:         80
        .size:           8
        .value_kind:     global_buffer
      - .actual_access:  read_only
        .address_space:  global
        .offset:         88
        .size:           8
        .value_kind:     global_buffer
      - .address_space:  global
        .offset:         96
        .size:           8
        .value_kind:     global_buffer
      - .address_space:  global
        .offset:         104
        .size:           8
        .value_kind:     global_buffer
    .group_segment_fixed_size: 0
    .kernarg_segment_align: 8
    .kernarg_segment_size: 112
    .language:       OpenCL C
    .language_version:
      - 2
      - 0
    .max_flat_workgroup_size: 192
    .name:           fft_rtc_back_len160_factors_4_10_4_wgs_192_tpt_16_dp_op_CI_CI_sbcc_twdbase6_3step_dirReg_intrinsicReadWrite
    .private_segment_fixed_size: 0
    .sgpr_count:     55
    .sgpr_spill_count: 0
    .symbol:         fft_rtc_back_len160_factors_4_10_4_wgs_192_tpt_16_dp_op_CI_CI_sbcc_twdbase6_3step_dirReg_intrinsicReadWrite.kd
    .uniform_work_group_size: 1
    .uses_dynamic_stack: false
    .vgpr_count:     76
    .vgpr_spill_count: 0
    .wavefront_size: 64
amdhsa.target:   amdgcn-amd-amdhsa--gfx906
amdhsa.version:
  - 1
  - 2
...

	.end_amdgpu_metadata
